;; amdgpu-corpus repo=ROCm/rocFFT kind=compiled arch=gfx1030 opt=O3
	.text
	.amdgcn_target "amdgcn-amd-amdhsa--gfx1030"
	.amdhsa_code_object_version 6
	.protected	fft_rtc_back_len50_factors_10_5_wgs_250_tpt_10_dp_op_CI_CI_sbcc_dirReg ; -- Begin function fft_rtc_back_len50_factors_10_5_wgs_250_tpt_10_dp_op_CI_CI_sbcc_dirReg
	.globl	fft_rtc_back_len50_factors_10_5_wgs_250_tpt_10_dp_op_CI_CI_sbcc_dirReg
	.p2align	8
	.type	fft_rtc_back_len50_factors_10_5_wgs_250_tpt_10_dp_op_CI_CI_sbcc_dirReg,@function
fft_rtc_back_len50_factors_10_5_wgs_250_tpt_10_dp_op_CI_CI_sbcc_dirReg: ; @fft_rtc_back_len50_factors_10_5_wgs_250_tpt_10_dp_op_CI_CI_sbcc_dirReg
; %bb.0:
	s_clause 0x1
	s_load_dwordx4 s[0:3], s[4:5], 0x18
	s_load_dwordx2 s[26:27], s[4:5], 0x28
	s_mov_b64 s[24:25], 0
	s_waitcnt lgkmcnt(0)
	s_load_dwordx2 s[20:21], s[0:1], 0x8
	s_waitcnt lgkmcnt(0)
	s_add_u32 s7, s20, -1
	s_addc_u32 s8, s21, -1
	s_add_u32 s9, 0, 0xd7093700
	s_addc_u32 s10, 0, 51
	s_mul_hi_u32 s12, s9, 0xffffffe7
	s_add_i32 s10, s10, 0xa3d7070
	s_sub_i32 s12, s12, s9
	s_mul_i32 s14, s10, 0xffffffe7
	s_mul_i32 s11, s9, 0xffffffe7
	s_add_i32 s12, s12, s14
	s_mul_hi_u32 s13, s9, s11
	s_mul_i32 s16, s9, s12
	s_mul_hi_u32 s14, s9, s12
	s_mul_hi_u32 s15, s10, s11
	s_mul_i32 s11, s10, s11
	s_add_u32 s13, s13, s16
	s_addc_u32 s14, 0, s14
	s_mul_hi_u32 s17, s10, s12
	s_add_u32 s11, s13, s11
	s_mul_i32 s12, s10, s12
	s_addc_u32 s11, s14, s15
	s_addc_u32 s13, s17, 0
	s_add_u32 s11, s11, s12
	v_add_co_u32 v1, s9, s9, s11
	s_addc_u32 s11, 0, s13
	s_cmp_lg_u32 s9, 0
	s_addc_u32 s9, s10, s11
	v_readfirstlane_b32 s10, v1
	s_mul_i32 s12, s7, s9
	s_mul_hi_u32 s11, s7, s9
	s_mul_hi_u32 s13, s8, s9
	s_mul_i32 s9, s8, s9
	s_mul_hi_u32 s14, s7, s10
	s_mul_hi_u32 s15, s8, s10
	s_mul_i32 s10, s8, s10
	s_add_u32 s12, s14, s12
	s_addc_u32 s11, 0, s11
	s_add_u32 s10, s12, s10
	s_addc_u32 s10, s11, s15
	s_addc_u32 s11, s13, 0
	s_add_u32 s9, s10, s9
	s_addc_u32 s10, 0, s11
	s_mul_i32 s12, s9, 25
	s_add_u32 s11, s9, 1
	v_sub_co_u32 v1, s7, s7, s12
	s_mul_hi_u32 s12, s9, 25
	s_addc_u32 s13, s10, 0
	s_mul_i32 s14, s10, 25
	v_sub_co_u32 v2, s15, v1, 25
	s_add_u32 s16, s9, 2
	s_addc_u32 s17, s10, 0
	s_add_i32 s12, s12, s14
	s_cmp_lg_u32 s7, 0
	v_readfirstlane_b32 s7, v2
	s_subb_u32 s8, s8, s12
	s_cmp_lg_u32 s15, 0
	s_subb_u32 s12, s8, 0
	s_cmp_gt_u32 s7, 24
	s_cselect_b32 s7, -1, 0
	s_cmp_eq_u32 s12, 0
	v_readfirstlane_b32 s12, v1
	s_cselect_b32 s7, s7, -1
	s_cmp_lg_u32 s7, 0
	s_cselect_b32 s11, s16, s11
	s_cselect_b32 s13, s17, s13
	s_cmp_gt_u32 s12, 24
	s_cselect_b32 s7, -1, 0
	s_cmp_eq_u32 s8, 0
	s_cselect_b32 s7, s7, -1
	s_cmp_lg_u32 s7, 0
	s_mov_b32 s7, 0
	s_cselect_b32 s8, s11, s9
	s_cselect_b32 s9, s13, s10
	s_add_u32 s28, s8, 1
	s_addc_u32 s29, s9, 0
	v_cmp_lt_u64_e64 s8, s[6:7], s[28:29]
	s_and_b32 vcc_lo, exec_lo, s8
	s_cbranch_vccnz .LBB0_2
; %bb.1:
	v_cvt_f32_u32_e32 v1, s28
	s_sub_i32 s9, 0, s28
	s_mov_b32 s25, s7
	v_rcp_iflag_f32_e32 v1, v1
	v_mul_f32_e32 v1, 0x4f7ffffe, v1
	v_cvt_u32_f32_e32 v1, v1
	v_readfirstlane_b32 s8, v1
	s_mul_i32 s9, s9, s8
	s_mul_hi_u32 s9, s8, s9
	s_add_i32 s8, s8, s9
	s_mul_hi_u32 s8, s6, s8
	s_mul_i32 s9, s8, s28
	s_add_i32 s10, s8, 1
	s_sub_i32 s9, s6, s9
	s_sub_i32 s11, s9, s28
	s_cmp_ge_u32 s9, s28
	s_cselect_b32 s8, s10, s8
	s_cselect_b32 s9, s11, s9
	s_add_i32 s10, s8, 1
	s_cmp_ge_u32 s9, s28
	s_cselect_b32 s24, s10, s8
.LBB0_2:
	s_load_dwordx4 s[16:19], s[2:3], 0x0
	s_load_dwordx4 s[8:11], s[26:27], 0x0
	s_clause 0x1
	s_load_dwordx2 s[30:31], s[4:5], 0x10
	s_load_dwordx2 s[22:23], s[4:5], 0x0
	s_mul_i32 s12, s24, s29
	s_mul_hi_u32 s13, s24, s28
	s_mul_i32 s14, s24, s28
	s_add_i32 s13, s13, s12
	s_sub_u32 s46, s6, s14
	s_subb_u32 s12, 0, s13
	s_mul_hi_u32 s33, s46, 25
	s_mul_i32 s34, s12, 25
	s_load_dwordx4 s[12:15], s[4:5], 0x60
	s_add_i32 s33, s33, s34
	s_mul_i32 s46, s46, 25
	s_waitcnt lgkmcnt(0)
	s_mul_i32 s4, s18, s33
	s_mul_hi_u32 s5, s18, s46
	v_cmp_lt_u64_e64 s38, s[30:31], 3
	s_mul_i32 s35, s10, s33
	s_mul_hi_u32 s36, s10, s46
	s_mul_i32 s34, s19, s46
	s_mul_i32 s37, s11, s46
	s_add_i32 s4, s5, s4
	s_add_i32 s5, s36, s35
	;; [unrolled: 1-line block ×3, first 2 shown]
	s_mul_i32 s48, s18, s46
	s_add_i32 s5, s5, s37
	s_and_b32 vcc_lo, exec_lo, s38
	s_mul_i32 s4, s10, s46
	s_cbranch_vccnz .LBB0_12
; %bb.3:
	s_add_u32 s34, s26, 16
	s_addc_u32 s35, s27, 0
	s_add_u32 s36, s2, 16
	s_addc_u32 s37, s3, 0
	;; [unrolled: 2-line block ×3, first 2 shown]
	s_mov_b64 s[38:39], 2
	s_mov_b32 s40, 0
.LBB0_4:                                ; =>This Inner Loop Header: Depth=1
	s_load_dwordx2 s[42:43], s[0:1], 0x0
	s_waitcnt lgkmcnt(0)
	s_or_b64 s[44:45], s[24:25], s[42:43]
	s_mov_b32 s41, s45
                                        ; implicit-def: $sgpr44_sgpr45
	s_cmp_lg_u64 s[40:41], 0
	s_mov_b32 s41, -1
	s_cbranch_scc0 .LBB0_6
; %bb.5:                                ;   in Loop: Header=BB0_4 Depth=1
	v_cvt_f32_u32_e32 v1, s42
	v_cvt_f32_u32_e32 v2, s43
	s_sub_u32 s45, 0, s42
	s_subb_u32 s49, 0, s43
	v_fmac_f32_e32 v1, 0x4f800000, v2
	v_rcp_f32_e32 v1, v1
	v_mul_f32_e32 v1, 0x5f7ffffc, v1
	v_mul_f32_e32 v2, 0x2f800000, v1
	v_trunc_f32_e32 v2, v2
	v_fmac_f32_e32 v1, 0xcf800000, v2
	v_cvt_u32_f32_e32 v2, v2
	v_cvt_u32_f32_e32 v1, v1
	v_readfirstlane_b32 s41, v2
	v_readfirstlane_b32 s44, v1
	s_mul_i32 s50, s45, s41
	s_mul_hi_u32 s52, s45, s44
	s_mul_i32 s51, s49, s44
	s_add_i32 s50, s52, s50
	s_mul_i32 s53, s45, s44
	s_add_i32 s50, s50, s51
	s_mul_hi_u32 s52, s44, s53
	s_mul_hi_u32 s54, s41, s53
	s_mul_i32 s51, s41, s53
	s_mul_hi_u32 s53, s44, s50
	s_mul_i32 s44, s44, s50
	s_mul_hi_u32 s55, s41, s50
	s_add_u32 s44, s52, s44
	s_addc_u32 s52, 0, s53
	s_add_u32 s44, s44, s51
	s_mul_i32 s50, s41, s50
	s_addc_u32 s44, s52, s54
	s_addc_u32 s51, s55, 0
	s_add_u32 s44, s44, s50
	s_addc_u32 s50, 0, s51
	v_add_co_u32 v1, s44, v1, s44
	s_cmp_lg_u32 s44, 0
	s_addc_u32 s41, s41, s50
	v_readfirstlane_b32 s44, v1
	s_mul_i32 s50, s45, s41
	s_mul_hi_u32 s51, s45, s44
	s_mul_i32 s49, s49, s44
	s_add_i32 s50, s51, s50
	s_mul_i32 s45, s45, s44
	s_add_i32 s50, s50, s49
	s_mul_hi_u32 s51, s41, s45
	s_mul_i32 s52, s41, s45
	s_mul_hi_u32 s45, s44, s45
	s_mul_hi_u32 s53, s44, s50
	s_mul_i32 s44, s44, s50
	s_mul_hi_u32 s49, s41, s50
	s_add_u32 s44, s45, s44
	s_addc_u32 s45, 0, s53
	s_add_u32 s44, s44, s52
	s_mul_i32 s50, s41, s50
	s_addc_u32 s44, s45, s51
	s_addc_u32 s45, s49, 0
	s_add_u32 s44, s44, s50
	s_addc_u32 s45, 0, s45
	v_add_co_u32 v1, s44, v1, s44
	s_cmp_lg_u32 s44, 0
	s_addc_u32 s41, s41, s45
	v_readfirstlane_b32 s44, v1
	s_mul_i32 s49, s24, s41
	s_mul_hi_u32 s45, s24, s41
	s_mul_hi_u32 s50, s25, s41
	s_mul_i32 s41, s25, s41
	s_mul_hi_u32 s51, s24, s44
	s_mul_hi_u32 s52, s25, s44
	s_mul_i32 s44, s25, s44
	s_add_u32 s49, s51, s49
	s_addc_u32 s45, 0, s45
	s_add_u32 s44, s49, s44
	s_addc_u32 s44, s45, s52
	s_addc_u32 s45, s50, 0
	s_add_u32 s44, s44, s41
	s_addc_u32 s45, 0, s45
	s_mul_hi_u32 s41, s42, s44
	s_mul_i32 s50, s42, s45
	s_mul_i32 s51, s42, s44
	s_add_i32 s41, s41, s50
	v_sub_co_u32 v1, s50, s24, s51
	s_mul_i32 s49, s43, s44
	s_add_i32 s41, s41, s49
	v_sub_co_u32 v2, s51, v1, s42
	s_sub_i32 s49, s25, s41
	s_cmp_lg_u32 s50, 0
	s_subb_u32 s49, s49, s43
	s_cmp_lg_u32 s51, 0
	v_readfirstlane_b32 s51, v2
	s_subb_u32 s49, s49, 0
	s_cmp_ge_u32 s49, s43
	s_cselect_b32 s52, -1, 0
	s_cmp_ge_u32 s51, s42
	s_cselect_b32 s51, -1, 0
	s_cmp_eq_u32 s49, s43
	s_cselect_b32 s49, s51, s52
	s_add_u32 s51, s44, 1
	s_addc_u32 s52, s45, 0
	s_add_u32 s53, s44, 2
	s_addc_u32 s54, s45, 0
	s_cmp_lg_u32 s49, 0
	s_cselect_b32 s49, s53, s51
	s_cselect_b32 s51, s54, s52
	s_cmp_lg_u32 s50, 0
	v_readfirstlane_b32 s50, v1
	s_subb_u32 s41, s25, s41
	s_cmp_ge_u32 s41, s43
	s_cselect_b32 s52, -1, 0
	s_cmp_ge_u32 s50, s42
	s_cselect_b32 s50, -1, 0
	s_cmp_eq_u32 s41, s43
	s_cselect_b32 s41, s50, s52
	s_cmp_lg_u32 s41, 0
	s_mov_b32 s41, 0
	s_cselect_b32 s45, s51, s45
	s_cselect_b32 s44, s49, s44
.LBB0_6:                                ;   in Loop: Header=BB0_4 Depth=1
	s_andn2_b32 vcc_lo, exec_lo, s41
	s_cbranch_vccnz .LBB0_8
; %bb.7:                                ;   in Loop: Header=BB0_4 Depth=1
	v_cvt_f32_u32_e32 v1, s42
	s_sub_i32 s44, 0, s42
	v_rcp_iflag_f32_e32 v1, v1
	v_mul_f32_e32 v1, 0x4f7ffffe, v1
	v_cvt_u32_f32_e32 v1, v1
	v_readfirstlane_b32 s41, v1
	s_mul_i32 s44, s44, s41
	s_mul_hi_u32 s44, s41, s44
	s_add_i32 s41, s41, s44
	s_mul_hi_u32 s41, s24, s41
	s_mul_i32 s44, s41, s42
	s_add_i32 s45, s41, 1
	s_sub_i32 s44, s24, s44
	s_sub_i32 s49, s44, s42
	s_cmp_ge_u32 s44, s42
	s_cselect_b32 s41, s45, s41
	s_cselect_b32 s44, s49, s44
	s_add_i32 s45, s41, 1
	s_cmp_ge_u32 s44, s42
	s_cselect_b32 s44, s45, s41
	s_mov_b32 s45, s40
.LBB0_8:                                ;   in Loop: Header=BB0_4 Depth=1
	s_load_dwordx2 s[50:51], s[36:37], 0x0
	s_load_dwordx2 s[52:53], s[34:35], 0x0
	s_mul_i32 s29, s42, s29
	s_mul_hi_u32 s41, s42, s28
	s_mul_i32 s49, s43, s28
	s_mul_i32 s43, s44, s43
	s_mul_hi_u32 s54, s44, s42
	s_mul_i32 s55, s45, s42
	s_add_i32 s29, s41, s29
	s_add_i32 s41, s54, s43
	s_mul_i32 s56, s44, s42
	s_add_i32 s29, s29, s49
	s_add_i32 s41, s41, s55
	s_sub_u32 s24, s24, s56
	s_subb_u32 s25, s25, s41
	s_mul_i32 s28, s42, s28
	s_waitcnt lgkmcnt(0)
	s_mul_i32 s41, s50, s25
	s_mul_hi_u32 s43, s50, s24
	s_mul_i32 s49, s51, s24
	s_add_i32 s41, s43, s41
	s_mul_i32 s50, s50, s24
	s_mul_i32 s25, s52, s25
	s_mul_hi_u32 s43, s52, s24
	s_add_i32 s41, s41, s49
	s_add_u32 s48, s50, s48
	s_addc_u32 s47, s41, s47
	s_add_i32 s25, s43, s25
	s_mul_i32 s41, s53, s24
	s_mul_i32 s24, s52, s24
	s_add_i32 s25, s25, s41
	s_add_u32 s4, s24, s4
	s_addc_u32 s5, s25, s5
	s_add_u32 s38, s38, 1
	s_addc_u32 s39, s39, 0
	s_add_u32 s34, s34, 8
	v_cmp_ge_u64_e64 s24, s[38:39], s[30:31]
	s_addc_u32 s35, s35, 0
	s_add_u32 s36, s36, 8
	s_addc_u32 s37, s37, 0
	s_add_u32 s0, s0, 8
	s_addc_u32 s1, s1, 0
	s_and_b32 vcc_lo, exec_lo, s24
	s_cbranch_vccnz .LBB0_10
; %bb.9:                                ;   in Loop: Header=BB0_4 Depth=1
	s_mov_b64 s[24:25], s[44:45]
	s_branch .LBB0_4
.LBB0_10:
	v_cmp_lt_u64_e64 s0, s[6:7], s[28:29]
	s_mov_b64 s[24:25], 0
	s_and_b32 vcc_lo, exec_lo, s0
	s_cbranch_vccnz .LBB0_12
; %bb.11:
	v_cvt_f32_u32_e32 v1, s28
	s_sub_i32 s1, 0, s28
	v_rcp_iflag_f32_e32 v1, v1
	v_mul_f32_e32 v1, 0x4f7ffffe, v1
	v_cvt_u32_f32_e32 v1, v1
	v_readfirstlane_b32 s0, v1
	s_mul_i32 s1, s1, s0
	s_mul_hi_u32 s1, s0, s1
	s_add_i32 s0, s0, s1
	s_mul_hi_u32 s0, s6, s0
	s_mul_i32 s1, s0, s28
	s_sub_i32 s1, s6, s1
	s_add_i32 s6, s0, 1
	s_sub_i32 s7, s1, s28
	s_cmp_ge_u32 s1, s28
	s_cselect_b32 s0, s6, s0
	s_cselect_b32 s1, s7, s1
	s_add_i32 s6, s0, 1
	s_cmp_ge_u32 s1, s28
	s_cselect_b32 s24, s6, s0
.LBB0_12:
	s_lshl_b64 s[0:1], s[30:31], 3
	v_mul_u32_u24_e32 v1, 0xa3e, v0
	s_add_u32 s2, s2, s0
	s_addc_u32 s3, s3, s1
                                        ; implicit-def: $vgpr15_vgpr16
                                        ; implicit-def: $vgpr11_vgpr12
                                        ; implicit-def: $vgpr23_vgpr24
                                        ; implicit-def: $vgpr27_vgpr28
                                        ; implicit-def: $vgpr31_vgpr32
                                        ; implicit-def: $vgpr39_vgpr40
                                        ; implicit-def: $vgpr19_vgpr20
                                        ; implicit-def: $vgpr35_vgpr36
                                        ; implicit-def: $vgpr3_vgpr4
                                        ; implicit-def: $vgpr7_vgpr8
	s_load_dwordx2 s[2:3], s[2:3], 0x0
	v_lshrrev_b32_e32 v42, 16, v1
	v_mul_lo_u16 v1, v42, 25
	v_sub_nc_u16 v43, v0, v1
	v_and_b32_e32 v41, 0xffff, v43
	s_waitcnt lgkmcnt(0)
	s_mul_i32 s3, s3, s24
	s_mul_hi_u32 s6, s2, s24
	s_mul_i32 s2, s2, s24
	s_add_i32 s3, s6, s3
	s_add_u32 s6, s2, s48
	s_addc_u32 s7, s3, s47
	s_add_u32 s2, s26, s0
	s_addc_u32 s3, s27, s1
	;; [unrolled: 2-line block ×3, first 2 shown]
	v_cmp_gt_u32_e64 s0, 0x7d, v0
	v_cmp_le_u64_e64 s25, s[26:27], s[20:21]
	v_cmp_gt_u64_e64 s1, s[26:27], s[20:21]
                                        ; kill: def $vgpr1_vgpr2 killed $sgpr0_sgpr1 killed $exec
	s_and_b32 s27, s0, s25
	s_and_saveexec_b32 s26, s27
	s_cbranch_execnz .LBB0_19
; %bb.13:
	s_or_b32 exec_lo, exec_lo, s26
	s_load_dwordx2 s[2:3], s[2:3], 0x0
	s_andn2_b32 vcc_lo, exec_lo, s1
	s_cbranch_vccz .LBB0_20
.LBB0_14:
	s_and_saveexec_b32 s26, s0
	s_cbranch_execz .LBB0_16
.LBB0_15:
	s_waitcnt vmcnt(7)
	v_add_f64 v[44:45], v[35:36], v[7:8]
	v_add_f64 v[46:47], v[33:34], v[5:6]
	s_waitcnt vmcnt(2)
	v_add_f64 v[48:49], v[23:24], v[31:32]
	s_waitcnt vmcnt(0)
	v_add_f64 v[50:51], v[13:14], v[17:18]
	v_add_f64 v[52:53], v[15:16], v[19:20]
	;; [unrolled: 1-line block ×7, first 2 shown]
	v_add_f64 v[64:65], v[35:36], -v[39:40]
	v_add_f64 v[66:67], v[33:34], -v[9:10]
	;; [unrolled: 1-line block ×11, first 2 shown]
	s_mov_b32 s6, 0x134454ff
	v_add_f64 v[39:40], v[39:40], v[44:45]
	v_add_f64 v[37:38], v[37:38], v[46:47]
	v_fma_f64 v[44:45], v[48:49], -0.5, v[3:4]
	v_fma_f64 v[46:47], v[50:51], -0.5, v[1:2]
	;; [unrolled: 1-line block ×3, first 2 shown]
	v_add_f64 v[50:51], v[31:32], -v[23:24]
	v_add_f64 v[52:53], v[17:18], -v[13:14]
	v_fma_f64 v[56:57], v[56:57], -0.5, v[1:2]
	s_mov_b32 s7, 0xbfee6f0e
	s_mov_b32 s1, 0x3fee6f0e
	;; [unrolled: 1-line block ×3, first 2 shown]
	v_fma_f64 v[54:55], v[54:55], -0.5, v[7:8]
	v_fma_f64 v[7:8], v[58:59], -0.5, v[7:8]
	;; [unrolled: 1-line block ×3, first 2 shown]
	v_add_f64 v[60:61], v[31:32], -v[19:20]
	v_add_f64 v[84:85], v[23:24], -v[15:16]
	v_fma_f64 v[5:6], v[62:63], -0.5, v[5:6]
	v_add_f64 v[62:63], v[17:18], -v[29:30]
	v_add_f64 v[86:87], v[13:14], -v[21:22]
	v_add_f64 v[3:4], v[19:20], v[3:4]
	v_add_f64 v[1:2], v[17:18], v[1:2]
	v_add_f64 v[17:18], v[19:20], -v[31:32]
	v_add_f64 v[19:20], v[15:16], -v[23:24]
	v_add_f64 v[78:79], v[80:81], v[78:79]
	s_mov_b32 s16, 0x4755a5e
	s_mov_b32 s17, 0xbfe2cf23
	v_fma_f64 v[90:91], v[76:77], s[0:1], v[48:49]
	v_fma_f64 v[92:93], v[50:51], s[0:1], v[46:47]
	;; [unrolled: 1-line block ×6, first 2 shown]
	s_mov_b32 s13, 0x3fe2cf23
	s_mov_b32 s12, s16
	v_add_f64 v[35:36], v[35:36], -v[11:12]
	s_mov_b32 s18, 0x372fe950
	s_mov_b32 s19, 0x3fd3c6ef
	v_add_f64 v[60:61], v[84:85], v[60:61]
	v_add_f64 v[84:85], v[11:12], -v[27:28]
	s_mov_b32 s28, 0x9b97f4a8
	v_add_f64 v[62:63], v[86:87], v[62:63]
	v_add_f64 v[3:4], v[31:32], v[3:4]
	;; [unrolled: 1-line block ×3, first 2 shown]
	v_add_f64 v[86:87], v[27:28], -v[11:12]
	v_add_f64 v[17:18], v[19:20], v[17:18]
	v_fma_f64 v[19:20], v[50:51], s[6:7], v[46:47]
	v_fma_f64 v[46:47], v[82:83], s[0:1], v[56:57]
	;; [unrolled: 1-line block ×11, first 2 shown]
	v_add_f64 v[92:93], v[9:10], -v[25:26]
	v_add_f64 v[27:28], v[27:28], v[39:40]
	v_fma_f64 v[39:40], v[35:36], s[0:1], v[58:59]
	v_fma_f64 v[58:59], v[35:36], s[6:7], v[58:59]
	v_add_f64 v[80:81], v[25:26], -v[9:10]
	v_fma_f64 v[7:8], v[72:73], s[6:7], v[7:8]
	s_mov_b32 s29, 0xbfe9e377
	s_mov_b32 s31, 0xbfd3c6ef
	;; [unrolled: 1-line block ×3, first 2 shown]
	v_add_f64 v[25:26], v[25:26], v[37:38]
	v_add_f64 v[3:4], v[23:24], v[3:4]
	v_fma_f64 v[19:20], v[82:83], s[12:13], v[19:20]
	v_fma_f64 v[46:47], v[50:51], s[12:13], v[46:47]
	;; [unrolled: 1-line block ×4, first 2 shown]
	v_add_f64 v[1:2], v[21:22], v[1:2]
	v_fma_f64 v[50:51], v[17:18], s[18:19], v[56:57]
	v_fma_f64 v[56:57], v[60:61], s[18:19], v[88:89]
	;; [unrolled: 1-line block ×6, first 2 shown]
	v_add_f64 v[64:65], v[84:85], v[64:65]
	v_add_f64 v[60:61], v[86:87], v[68:69]
	v_fma_f64 v[21:22], v[66:67], s[16:17], v[29:30]
	v_fma_f64 v[23:24], v[72:73], s[16:17], v[31:32]
	v_add_f64 v[68:69], v[92:93], v[70:71]
	v_add_f64 v[11:12], v[11:12], v[27:28]
	v_fma_f64 v[27:28], v[74:75], s[12:13], v[39:40]
	v_fma_f64 v[39:40], v[74:75], s[16:17], v[58:59]
	;; [unrolled: 1-line block ×3, first 2 shown]
	v_add_f64 v[33:34], v[80:81], v[33:34]
	s_mov_b32 s35, 0x3fe9e377
	v_fma_f64 v[19:20], v[78:79], s[18:19], v[19:20]
	v_fma_f64 v[29:30], v[62:63], s[18:19], v[46:47]
	;; [unrolled: 1-line block ×5, first 2 shown]
	v_mul_f64 v[31:32], v[50:51], s[28:29]
	v_mul_f64 v[37:38], v[56:57], s[30:31]
	;; [unrolled: 1-line block ×8, first 2 shown]
	v_add_f64 v[9:10], v[9:10], v[25:26]
	v_add_f64 v[15:16], v[15:16], v[3:4]
	;; [unrolled: 1-line block ×3, first 2 shown]
	s_mov_b32 s34, s28
	v_fma_f64 v[21:22], v[60:61], s[18:19], v[21:22]
	v_fma_f64 v[56:57], v[64:65], s[18:19], v[23:24]
	;; [unrolled: 1-line block ×16, first 2 shown]
	v_add_f64 v[7:8], v[15:16], v[11:12]
	v_add_f64 v[5:6], v[13:14], v[9:10]
	v_add_f64 v[3:4], v[11:12], -v[15:16]
	v_add_f64 v[1:2], v[9:10], -v[13:14]
	;; [unrolled: 1-line block ×4, first 2 shown]
	v_add_f64 v[27:28], v[56:57], v[31:32]
	v_add_f64 v[31:32], v[21:22], v[37:38]
	;; [unrolled: 1-line block ×7, first 2 shown]
	v_add_f64 v[19:20], v[25:26], -v[44:45]
	v_add_f64 v[25:26], v[62:63], v[50:51]
	v_add_f64 v[23:24], v[46:47], -v[48:49]
	v_add_f64 v[21:22], v[64:65], -v[52:53]
	;; [unrolled: 1-line block ×3, first 2 shown]
	v_mov_b32_e32 v44, 4
	v_add_f64 v[13:14], v[58:59], -v[66:67]
	v_add_f64 v[9:10], v[62:63], -v[50:51]
	v_mul_u32_u24_e32 v45, 0xfa0, v42
	v_lshlrev_b32_sdwa v44, v44, v43 dst_sel:DWORD dst_unused:UNUSED_PAD src0_sel:DWORD src1_sel:WORD_0
	v_add3_u32 v44, 0, v45, v44
	ds_write_b128 v44, v[5:8]
	ds_write_b128 v44, v[1:4] offset:2000
	ds_write_b128 v44, v[37:40] offset:400
	;; [unrolled: 1-line block ×9, first 2 shown]
.LBB0_16:
	s_or_b32 exec_lo, exec_lo, s26
	s_waitcnt vmcnt(8)
	v_add_co_u32 v1, s0, s46, v41
	v_add_co_ci_u32_e64 v2, null, s33, 0, s0
	s_waitcnt vmcnt(0) lgkmcnt(0)
	s_barrier
	buffer_gl0_inv
	v_cmp_gt_u64_e32 vcc_lo, s[20:21], v[1:2]
	s_or_b32 s0, s25, vcc_lo
	s_and_saveexec_b32 s1, s0
	s_cbranch_execz .LBB0_18
; %bb.17:
	v_mul_lo_u16 v1, v42, 26
	v_mov_b32_e32 v2, 6
	v_mov_b32_e32 v17, 4
	v_mul_u32_u24_e32 v18, 0x190, v42
	v_mov_b32_e32 v49, 0x107
	v_lshrrev_b16 v1, 8, v1
	v_mad_u64_u32 v[46:47], null, s10, v41, 0
	v_lshlrev_b32_sdwa v17, v17, v43 dst_sel:DWORD dst_unused:UNUSED_PAD src0_sel:DWORD src1_sel:WORD_0
	v_mul_u32_u24_sdwa v49, v0, v49 dst_sel:DWORD dst_unused:UNUSED_PAD src0_sel:WORD_0 src1_sel:DWORD
	v_mul_lo_u16 v1, v1, 10
	s_mov_b32 s6, 0x134454ff
	s_mov_b32 s7, 0x3fee6f0e
	v_add3_u32 v33, 0, v18, v17
	v_mov_b32_e32 v0, v47
	v_sub_nc_u16 v48, v42, v1
	s_mov_b32 s19, 0xbfee6f0e
	s_mov_b32 s18, s6
	s_mul_i32 s12, s3, s24
	s_mul_hi_u32 s17, s2, s24
	v_lshlrev_b32_sdwa v13, v2, v48 dst_sel:DWORD dst_unused:UNUSED_PAD src0_sel:DWORD src1_sel:BYTE_0
	s_mul_i32 s16, s2, s24
	s_mov_b32 s2, 0x4755a5e
	s_mov_b32 s3, 0xbfe2cf23
	;; [unrolled: 1-line block ×3, first 2 shown]
	s_clause 0x3
	global_load_dwordx4 v[1:4], v13, s[22:23] offset:16
	global_load_dwordx4 v[5:8], v13, s[22:23]
	global_load_dwordx4 v[9:12], v13, s[22:23] offset:48
	global_load_dwordx4 v[13:16], v13, s[22:23] offset:32
	ds_read_b128 v[17:20], v33 offset:8000
	ds_read_b128 v[21:24], v33 offset:4000
	;; [unrolled: 1-line block ×4, first 2 shown]
	ds_read_b128 v[33:36], v33
	s_add_i32 s17, s17, s12
	s_mov_b32 s12, s2
	s_lshl_b64 s[16:17], s[16:17], 4
	s_mov_b32 s0, 0x372fe950
	s_add_u32 s10, s14, s16
	s_mov_b32 s1, 0x3fd3c6ef
	s_waitcnt vmcnt(3) lgkmcnt(4)
	v_mul_f64 v[37:38], v[17:18], v[3:4]
	s_waitcnt vmcnt(2) lgkmcnt(3)
	v_mul_f64 v[39:40], v[21:22], v[7:8]
	;; [unrolled: 2-line block ×4, first 2 shown]
	v_mul_f64 v[3:4], v[19:20], v[3:4]
	v_mul_f64 v[7:8], v[23:24], v[7:8]
	;; [unrolled: 1-line block ×4, first 2 shown]
	v_fma_f64 v[19:20], v[19:20], v[1:2], -v[37:38]
	v_fma_f64 v[23:24], v[23:24], v[5:6], -v[39:40]
	;; [unrolled: 1-line block ×4, first 2 shown]
	v_fma_f64 v[1:2], v[17:18], v[1:2], v[3:4]
	v_fma_f64 v[3:4], v[21:22], v[5:6], v[7:8]
	;; [unrolled: 1-line block ×4, first 2 shown]
	v_lshrrev_b32_e32 v11, 16, v49
	v_add_f64 v[49:50], v[23:24], -v[27:28]
	v_add_f64 v[13:14], v[19:20], v[31:32]
	v_mad_u64_u32 v[9:10], null, s11, v41, v[0:1]
	v_mul_lo_u16 v0, v11, 50
	v_add_f64 v[11:12], v[23:24], v[27:28]
	v_add_f64 v[15:16], v[3:4], v[5:6]
	;; [unrolled: 1-line block ×3, first 2 shown]
	v_add_f64 v[41:42], v[1:2], -v[7:8]
	v_add_nc_u32_sdwa v51, v48, v0 dst_sel:DWORD dst_unused:UNUSED_PAD src0_sel:BYTE_0 src1_sel:WORD_0
	v_mov_b32_e32 v47, v9
	v_add_f64 v[43:44], v[3:4], -v[5:6]
	v_add_f64 v[55:56], v[27:28], -v[31:32]
	v_add_f64 v[57:58], v[1:2], -v[3:4]
	v_mad_u64_u32 v[9:10], null, s8, v51, 0
	v_lshlrev_b64 v[21:22], 4, v[46:47]
	s_waitcnt lgkmcnt(0)
	v_add_f64 v[45:46], v[35:36], v[23:24]
	v_add_f64 v[47:48], v[33:34], v[3:4]
	v_add_nc_u32_e32 v67, 10, v51
	v_add_nc_u32_e32 v69, 20, v51
	;; [unrolled: 1-line block ×3, first 2 shown]
	v_mov_b32_e32 v0, v10
	v_add_nc_u32_e32 v71, 40, v51
	v_add_f64 v[3:4], v[3:4], -v[1:2]
	v_add_f64 v[61:62], v[5:6], -v[7:8]
	;; [unrolled: 1-line block ×3, first 2 shown]
	v_fma_f64 v[10:11], v[11:12], -0.5, v[35:36]
	v_fma_f64 v[12:13], v[13:14], -0.5, v[35:36]
	;; [unrolled: 1-line block ×4, first 2 shown]
	v_add_f64 v[35:36], v[19:20], -v[31:32]
	v_mad_u64_u32 v[33:34], null, s9, v51, v[0:1]
	v_add_f64 v[51:52], v[19:20], -v[23:24]
	v_add_f64 v[23:24], v[23:24], -v[19:20]
	;; [unrolled: 1-line block ×3, first 2 shown]
	v_mad_u64_u32 v[25:26], null, s8, v67, 0
	v_add_f64 v[19:20], v[45:46], v[19:20]
	v_add_f64 v[1:2], v[47:48], v[1:2]
	v_mad_u64_u32 v[29:30], null, s8, v69, 0
	v_mad_u64_u32 v[37:38], null, s8, v70, 0
	;; [unrolled: 1-line block ×3, first 2 shown]
	v_mov_b32_e32 v0, v26
	s_addc_u32 s11, s15, s17
	v_fma_f64 v[45:46], v[41:42], s[6:7], v[10:11]
	v_fma_f64 v[10:11], v[41:42], s[18:19], v[10:11]
	;; [unrolled: 1-line block ×8, first 2 shown]
	v_mov_b32_e32 v18, v30
	v_mov_b32_e32 v26, v38
	;; [unrolled: 1-line block ×3, first 2 shown]
	v_add_f64 v[23:24], v[23:24], v[55:56]
	v_add_f64 v[55:56], v[3:4], v[61:62]
	v_mad_u64_u32 v[67:68], null, s9, v67, v[0:1]
	v_add_f64 v[3:4], v[19:20], v[31:32]
	v_add_f64 v[0:1], v[1:2], v[7:8]
	v_mad_u64_u32 v[68:69], null, s9, v69, v[18:19]
	v_add_f64 v[51:52], v[51:52], v[53:54]
	v_mad_u64_u32 v[69:70], null, s9, v70, v[26:27]
	v_add_f64 v[53:54], v[57:58], v[59:60]
	v_fma_f64 v[18:19], v[43:44], s[12:13], v[10:11]
	v_fma_f64 v[7:8], v[43:44], s[2:3], v[45:46]
	;; [unrolled: 1-line block ×3, first 2 shown]
	v_mad_u64_u32 v[70:71], null, s9, v71, v[30:31]
	v_fma_f64 v[16:17], v[35:36], s[2:3], v[16:17]
	v_fma_f64 v[43:44], v[49:50], s[2:3], v[14:15]
	;; [unrolled: 1-line block ×5, first 2 shown]
	v_mov_b32_e32 v10, v33
	s_lshl_b64 s[4:5], s[4:5], 4
	v_mov_b32_e32 v26, v67
	s_add_u32 s4, s10, s4
	v_add_f64 v[2:3], v[3:4], v[27:28]
	v_add_f64 v[0:1], v[0:1], v[5:6]
	v_add_co_u32 v47, vcc_lo, s4, v21
	v_lshlrev_b64 v[20:21], 4, v[9:10]
	s_addc_u32 s5, s11, s5
	v_mov_b32_e32 v30, v68
	v_add_co_ci_u32_e32 v48, vcc_lo, s5, v22, vcc_lo
	v_fma_f64 v[10:11], v[51:52], s[0:1], v[18:19]
	v_fma_f64 v[18:19], v[23:24], s[0:1], v[12:13]
	;; [unrolled: 1-line block ×3, first 2 shown]
	v_lshlrev_b64 v[25:26], 4, v[25:26]
	v_fma_f64 v[16:17], v[55:56], s[0:1], v[16:17]
	v_fma_f64 v[8:9], v[53:54], s[0:1], v[43:44]
	;; [unrolled: 1-line block ×5, first 2 shown]
	v_mov_b32_e32 v38, v69
	v_lshlrev_b64 v[29:30], 4, v[29:30]
	v_add_co_u32 v20, vcc_lo, v47, v20
	v_mov_b32_e32 v40, v70
	v_add_co_ci_u32_e32 v21, vcc_lo, v48, v21, vcc_lo
	v_lshlrev_b64 v[33:34], 4, v[37:38]
	v_add_co_u32 v22, vcc_lo, v47, v25
	v_add_co_ci_u32_e32 v23, vcc_lo, v48, v26, vcc_lo
	v_lshlrev_b64 v[35:36], 4, v[39:40]
	v_add_co_u32 v24, vcc_lo, v47, v29
	v_add_co_ci_u32_e32 v25, vcc_lo, v48, v30, vcc_lo
	v_add_co_u32 v26, vcc_lo, v47, v33
	v_add_co_ci_u32_e32 v27, vcc_lo, v48, v34, vcc_lo
	;; [unrolled: 2-line block ×3, first 2 shown]
	global_store_dwordx4 v[20:21], v[0:3], off
	global_store_dwordx4 v[22:23], v[16:19], off
	;; [unrolled: 1-line block ×5, first 2 shown]
.LBB0_18:
	s_endpgm
.LBB0_19:
	v_mad_u64_u32 v[1:2], null, s18, v41, 0
	v_mad_u64_u32 v[3:4], null, s16, v42, 0
	v_add_nc_u32_e32 v12, 5, v42
	v_add_nc_u32_e32 v14, 10, v42
	;; [unrolled: 1-line block ×3, first 2 shown]
	s_lshl_b64 s[28:29], s[6:7], 4
	v_add_nc_u32_e32 v16, 20, v42
	s_add_u32 s27, s12, s28
	v_mad_u64_u32 v[5:6], null, s19, v41, v[2:3]
	v_mad_u64_u32 v[6:7], null, s16, v12, 0
	;; [unrolled: 1-line block ×3, first 2 shown]
	s_addc_u32 s28, s13, s29
	v_mad_u64_u32 v[10:11], null, s16, v15, 0
	v_mov_b32_e32 v2, v5
	v_mad_u64_u32 v[4:5], null, s17, v42, v[4:5]
	v_mov_b32_e32 v5, v7
	v_mov_b32_e32 v7, v9
	v_lshlrev_b64 v[1:2], 4, v[1:2]
	v_add_nc_u32_e32 v17, 25, v42
	v_add_nc_u32_e32 v27, 30, v42
	v_mad_u64_u32 v[12:13], null, s17, v12, v[5:6]
	v_add_nc_u32_e32 v28, 35, v42
	v_add_co_u32 v29, vcc_lo, s27, v1
	v_add_co_ci_u32_e32 v30, vcc_lo, s28, v2, vcc_lo
	v_lshlrev_b64 v[1:2], 4, v[3:4]
	v_mad_u64_u32 v[3:4], null, s17, v14, v[7:8]
	v_mov_b32_e32 v7, v12
	v_mov_b32_e32 v4, v11
	v_mad_u64_u32 v[21:22], null, s16, v17, 0
	v_add_co_u32 v1, vcc_lo, v29, v1
	v_lshlrev_b64 v[5:6], 4, v[6:7]
	v_mov_b32_e32 v9, v3
	v_add_co_ci_u32_e32 v2, vcc_lo, v30, v2, vcc_lo
	v_mad_u64_u32 v[23:24], null, s16, v27, 0
	v_mad_u64_u32 v[11:12], null, s17, v15, v[4:5]
	;; [unrolled: 1-line block ×3, first 2 shown]
	v_lshlrev_b64 v[12:13], 4, v[8:9]
	v_add_co_u32 v3, vcc_lo, v29, v5
	v_add_co_ci_u32_e32 v4, vcc_lo, v30, v6, vcc_lo
	v_lshlrev_b64 v[10:11], 4, v[10:11]
	v_mov_b32_e32 v9, v15
	v_add_co_u32 v12, vcc_lo, v29, v12
	v_add_co_ci_u32_e32 v13, vcc_lo, v30, v13, vcc_lo
	v_mad_u64_u32 v[15:16], null, s17, v16, v[9:10]
	v_add_co_u32 v9, vcc_lo, v29, v10
	v_add_co_ci_u32_e32 v10, vcc_lo, v30, v11, vcc_lo
	v_mov_b32_e32 v11, v22
	s_clause 0x1
	global_load_dwordx4 v[5:8], v[1:2], off
	global_load_dwordx4 v[1:4], v[3:4], off
	v_mad_u64_u32 v[25:26], null, s16, v28, 0
	v_or_b32_e32 v31, 40, v42
	v_mad_u64_u32 v[16:17], null, s17, v17, v[11:12]
	s_clause 0x1
	global_load_dwordx4 v[33:36], v[12:13], off
	global_load_dwordx4 v[17:20], v[9:10], off
	v_lshlrev_b64 v[10:11], 4, v[14:15]
	v_mov_b32_e32 v9, v24
	v_add_nc_u32_e32 v32, 45, v42
	v_mov_b32_e32 v22, v16
	v_mad_u64_u32 v[12:13], null, s17, v27, v[9:10]
	v_mad_u64_u32 v[13:14], null, s16, v31, 0
	v_mov_b32_e32 v9, v26
	v_lshlrev_b64 v[21:22], 4, v[21:22]
	v_mov_b32_e32 v24, v12
	v_mad_u64_u32 v[15:16], null, s17, v28, v[9:10]
	v_mad_u64_u32 v[27:28], null, s16, v32, 0
	v_add_co_u32 v9, vcc_lo, v29, v10
	v_add_co_ci_u32_e32 v10, vcc_lo, v30, v11, vcc_lo
	v_mov_b32_e32 v11, v14
	v_mov_b32_e32 v26, v15
	v_add_co_u32 v15, vcc_lo, v29, v21
	v_add_co_ci_u32_e32 v16, vcc_lo, v30, v22, vcc_lo
	v_mad_u64_u32 v[11:12], null, s17, v31, v[11:12]
	v_mov_b32_e32 v12, v28
	v_lshlrev_b64 v[21:22], 4, v[23:24]
	v_mad_u64_u32 v[23:24], null, s17, v32, v[12:13]
	v_mov_b32_e32 v14, v11
	v_lshlrev_b64 v[24:25], 4, v[25:26]
	v_add_co_u32 v11, vcc_lo, v29, v21
	v_add_co_ci_u32_e32 v12, vcc_lo, v30, v22, vcc_lo
	v_mov_b32_e32 v28, v23
	v_lshlrev_b64 v[13:14], 4, v[13:14]
	v_add_co_u32 v21, vcc_lo, v29, v24
	v_add_co_ci_u32_e32 v22, vcc_lo, v30, v25, vcc_lo
	v_lshlrev_b64 v[23:24], 4, v[27:28]
	v_add_co_u32 v13, vcc_lo, v29, v13
	v_add_co_ci_u32_e32 v14, vcc_lo, v30, v14, vcc_lo
	v_add_co_u32 v44, vcc_lo, v29, v23
	v_add_co_ci_u32_e32 v45, vcc_lo, v30, v24, vcc_lo
	s_clause 0x5
	global_load_dwordx4 v[37:40], v[9:10], off
	global_load_dwordx4 v[29:32], v[15:16], off
	;; [unrolled: 1-line block ×6, first 2 shown]
	s_or_b32 exec_lo, exec_lo, s26
	s_load_dwordx2 s[2:3], s[2:3], 0x0
	s_andn2_b32 vcc_lo, exec_lo, s1
	s_cbranch_vccnz .LBB0_14
.LBB0_20:
	v_add_co_u32 v44, s1, s46, v41
	v_add_co_ci_u32_e64 v45, null, s33, 0, s1
	v_cmp_gt_u64_e32 vcc_lo, s[20:21], v[44:45]
	s_and_b32 s26, s0, vcc_lo
	s_and_saveexec_b32 s1, s26
	s_cbranch_execz .LBB0_22
; %bb.21:
	s_waitcnt vmcnt(8)
	v_mad_u64_u32 v[1:2], null, s18, v41, 0
	v_mad_u64_u32 v[3:4], null, s16, v42, 0
	s_waitcnt vmcnt(1)
	v_add_nc_u32_e32 v12, 5, v42
	s_waitcnt vmcnt(0)
	v_add_nc_u32_e32 v14, 10, v42
	v_add_nc_u32_e32 v15, 15, v42
	s_lshl_b64 s[6:7], s[6:7], 4
	v_add_nc_u32_e32 v16, 20, v42
	s_add_u32 s6, s12, s6
	v_mad_u64_u32 v[5:6], null, s19, v41, v[2:3]
	v_mad_u64_u32 v[6:7], null, s16, v12, 0
	;; [unrolled: 1-line block ×3, first 2 shown]
	s_addc_u32 s7, s13, s7
	v_mad_u64_u32 v[10:11], null, s16, v15, 0
	v_mov_b32_e32 v2, v5
	v_mad_u64_u32 v[4:5], null, s17, v42, v[4:5]
	v_mov_b32_e32 v5, v7
	v_mov_b32_e32 v7, v9
	v_lshlrev_b64 v[1:2], 4, v[1:2]
	v_add_nc_u32_e32 v17, 25, v42
	v_add_nc_u32_e32 v27, 30, v42
	v_mad_u64_u32 v[12:13], null, s17, v12, v[5:6]
	v_add_nc_u32_e32 v28, 35, v42
	v_add_co_u32 v29, vcc_lo, s6, v1
	v_add_co_ci_u32_e32 v30, vcc_lo, s7, v2, vcc_lo
	v_lshlrev_b64 v[1:2], 4, v[3:4]
	v_mad_u64_u32 v[3:4], null, s17, v14, v[7:8]
	v_mov_b32_e32 v7, v12
	v_mov_b32_e32 v4, v11
	v_mad_u64_u32 v[21:22], null, s16, v17, 0
	v_add_co_u32 v1, vcc_lo, v29, v1
	v_lshlrev_b64 v[5:6], 4, v[6:7]
	v_mov_b32_e32 v9, v3
	v_add_co_ci_u32_e32 v2, vcc_lo, v30, v2, vcc_lo
	v_mad_u64_u32 v[23:24], null, s16, v27, 0
	v_mad_u64_u32 v[11:12], null, s17, v15, v[4:5]
	;; [unrolled: 1-line block ×3, first 2 shown]
	v_lshlrev_b64 v[12:13], 4, v[8:9]
	v_add_co_u32 v3, vcc_lo, v29, v5
	v_add_co_ci_u32_e32 v4, vcc_lo, v30, v6, vcc_lo
	v_lshlrev_b64 v[10:11], 4, v[10:11]
	v_mov_b32_e32 v9, v15
	v_add_co_u32 v12, vcc_lo, v29, v12
	v_add_co_ci_u32_e32 v13, vcc_lo, v30, v13, vcc_lo
	v_mad_u64_u32 v[15:16], null, s17, v16, v[9:10]
	v_add_co_u32 v9, vcc_lo, v29, v10
	v_add_co_ci_u32_e32 v10, vcc_lo, v30, v11, vcc_lo
	v_mov_b32_e32 v11, v22
	s_clause 0x1
	global_load_dwordx4 v[5:8], v[1:2], off
	global_load_dwordx4 v[1:4], v[3:4], off
	v_mad_u64_u32 v[25:26], null, s16, v28, 0
	v_or_b32_e32 v31, 40, v42
	v_mad_u64_u32 v[16:17], null, s17, v17, v[11:12]
	s_clause 0x1
	global_load_dwordx4 v[33:36], v[12:13], off
	global_load_dwordx4 v[17:20], v[9:10], off
	v_lshlrev_b64 v[10:11], 4, v[14:15]
	v_mov_b32_e32 v9, v24
	v_add_nc_u32_e32 v32, 45, v42
	v_mov_b32_e32 v22, v16
	v_mad_u64_u32 v[12:13], null, s17, v27, v[9:10]
	v_mad_u64_u32 v[13:14], null, s16, v31, 0
	v_mov_b32_e32 v9, v26
	v_lshlrev_b64 v[21:22], 4, v[21:22]
	v_mov_b32_e32 v24, v12
	v_mad_u64_u32 v[15:16], null, s17, v28, v[9:10]
	v_mad_u64_u32 v[27:28], null, s16, v32, 0
	v_add_co_u32 v9, vcc_lo, v29, v10
	v_add_co_ci_u32_e32 v10, vcc_lo, v30, v11, vcc_lo
	v_mov_b32_e32 v11, v14
	v_mov_b32_e32 v26, v15
	v_add_co_u32 v15, vcc_lo, v29, v21
	v_add_co_ci_u32_e32 v16, vcc_lo, v30, v22, vcc_lo
	v_mad_u64_u32 v[11:12], null, s17, v31, v[11:12]
	v_mov_b32_e32 v12, v28
	v_lshlrev_b64 v[21:22], 4, v[23:24]
	v_mad_u64_u32 v[23:24], null, s17, v32, v[12:13]
	v_mov_b32_e32 v14, v11
	v_lshlrev_b64 v[24:25], 4, v[25:26]
	v_add_co_u32 v11, vcc_lo, v29, v21
	v_add_co_ci_u32_e32 v12, vcc_lo, v30, v22, vcc_lo
	v_mov_b32_e32 v28, v23
	v_lshlrev_b64 v[13:14], 4, v[13:14]
	v_add_co_u32 v21, vcc_lo, v29, v24
	v_add_co_ci_u32_e32 v22, vcc_lo, v30, v25, vcc_lo
	v_lshlrev_b64 v[23:24], 4, v[27:28]
	v_add_co_u32 v13, vcc_lo, v29, v13
	v_add_co_ci_u32_e32 v14, vcc_lo, v30, v14, vcc_lo
	v_add_co_u32 v44, vcc_lo, v29, v23
	v_add_co_ci_u32_e32 v45, vcc_lo, v30, v24, vcc_lo
	s_clause 0x5
	global_load_dwordx4 v[37:40], v[9:10], off
	global_load_dwordx4 v[29:32], v[15:16], off
	;; [unrolled: 1-line block ×6, first 2 shown]
.LBB0_22:
	s_or_b32 exec_lo, exec_lo, s1
	s_and_saveexec_b32 s26, s0
	s_cbranch_execnz .LBB0_15
	s_branch .LBB0_16
	.section	.rodata,"a",@progbits
	.p2align	6, 0x0
	.amdhsa_kernel fft_rtc_back_len50_factors_10_5_wgs_250_tpt_10_dp_op_CI_CI_sbcc_dirReg
		.amdhsa_group_segment_fixed_size 0
		.amdhsa_private_segment_fixed_size 0
		.amdhsa_kernarg_size 112
		.amdhsa_user_sgpr_count 6
		.amdhsa_user_sgpr_private_segment_buffer 1
		.amdhsa_user_sgpr_dispatch_ptr 0
		.amdhsa_user_sgpr_queue_ptr 0
		.amdhsa_user_sgpr_kernarg_segment_ptr 1
		.amdhsa_user_sgpr_dispatch_id 0
		.amdhsa_user_sgpr_flat_scratch_init 0
		.amdhsa_user_sgpr_private_segment_size 0
		.amdhsa_wavefront_size32 1
		.amdhsa_uses_dynamic_stack 0
		.amdhsa_system_sgpr_private_segment_wavefront_offset 0
		.amdhsa_system_sgpr_workgroup_id_x 1
		.amdhsa_system_sgpr_workgroup_id_y 0
		.amdhsa_system_sgpr_workgroup_id_z 0
		.amdhsa_system_sgpr_workgroup_info 0
		.amdhsa_system_vgpr_workitem_id 0
		.amdhsa_next_free_vgpr 94
		.amdhsa_next_free_sgpr 57
		.amdhsa_reserve_vcc 1
		.amdhsa_reserve_flat_scratch 0
		.amdhsa_float_round_mode_32 0
		.amdhsa_float_round_mode_16_64 0
		.amdhsa_float_denorm_mode_32 3
		.amdhsa_float_denorm_mode_16_64 3
		.amdhsa_dx10_clamp 1
		.amdhsa_ieee_mode 1
		.amdhsa_fp16_overflow 0
		.amdhsa_workgroup_processor_mode 1
		.amdhsa_memory_ordered 1
		.amdhsa_forward_progress 0
		.amdhsa_shared_vgpr_count 0
		.amdhsa_exception_fp_ieee_invalid_op 0
		.amdhsa_exception_fp_denorm_src 0
		.amdhsa_exception_fp_ieee_div_zero 0
		.amdhsa_exception_fp_ieee_overflow 0
		.amdhsa_exception_fp_ieee_underflow 0
		.amdhsa_exception_fp_ieee_inexact 0
		.amdhsa_exception_int_div_zero 0
	.end_amdhsa_kernel
	.text
.Lfunc_end0:
	.size	fft_rtc_back_len50_factors_10_5_wgs_250_tpt_10_dp_op_CI_CI_sbcc_dirReg, .Lfunc_end0-fft_rtc_back_len50_factors_10_5_wgs_250_tpt_10_dp_op_CI_CI_sbcc_dirReg
                                        ; -- End function
	.section	.AMDGPU.csdata,"",@progbits
; Kernel info:
; codeLenInByte = 5728
; NumSgprs: 59
; NumVgprs: 94
; ScratchSize: 0
; MemoryBound: 1
; FloatMode: 240
; IeeeMode: 1
; LDSByteSize: 0 bytes/workgroup (compile time only)
; SGPRBlocks: 7
; VGPRBlocks: 11
; NumSGPRsForWavesPerEU: 59
; NumVGPRsForWavesPerEU: 94
; Occupancy: 10
; WaveLimiterHint : 1
; COMPUTE_PGM_RSRC2:SCRATCH_EN: 0
; COMPUTE_PGM_RSRC2:USER_SGPR: 6
; COMPUTE_PGM_RSRC2:TRAP_HANDLER: 0
; COMPUTE_PGM_RSRC2:TGID_X_EN: 1
; COMPUTE_PGM_RSRC2:TGID_Y_EN: 0
; COMPUTE_PGM_RSRC2:TGID_Z_EN: 0
; COMPUTE_PGM_RSRC2:TIDIG_COMP_CNT: 0
	.text
	.p2alignl 6, 3214868480
	.fill 48, 4, 3214868480
	.type	__hip_cuid_1be17404f5d615cd,@object ; @__hip_cuid_1be17404f5d615cd
	.section	.bss,"aw",@nobits
	.globl	__hip_cuid_1be17404f5d615cd
__hip_cuid_1be17404f5d615cd:
	.byte	0                               ; 0x0
	.size	__hip_cuid_1be17404f5d615cd, 1

	.ident	"AMD clang version 19.0.0git (https://github.com/RadeonOpenCompute/llvm-project roc-6.4.0 25133 c7fe45cf4b819c5991fe208aaa96edf142730f1d)"
	.section	".note.GNU-stack","",@progbits
	.addrsig
	.addrsig_sym __hip_cuid_1be17404f5d615cd
	.amdgpu_metadata
---
amdhsa.kernels:
  - .args:
      - .actual_access:  read_only
        .address_space:  global
        .offset:         0
        .size:           8
        .value_kind:     global_buffer
      - .address_space:  global
        .offset:         8
        .size:           8
        .value_kind:     global_buffer
      - .offset:         16
        .size:           8
        .value_kind:     by_value
      - .actual_access:  read_only
        .address_space:  global
        .offset:         24
        .size:           8
        .value_kind:     global_buffer
      - .actual_access:  read_only
        .address_space:  global
        .offset:         32
        .size:           8
        .value_kind:     global_buffer
      - .actual_access:  read_only
        .address_space:  global
        .offset:         40
        .size:           8
        .value_kind:     global_buffer
      - .offset:         48
        .size:           8
        .value_kind:     by_value
      - .actual_access:  read_only
        .address_space:  global
        .offset:         56
        .size:           8
        .value_kind:     global_buffer
      - .actual_access:  read_only
        .address_space:  global
        .offset:         64
        .size:           8
        .value_kind:     global_buffer
      - .offset:         72
        .size:           4
        .value_kind:     by_value
      - .actual_access:  read_only
        .address_space:  global
        .offset:         80
        .size:           8
        .value_kind:     global_buffer
      - .actual_access:  read_only
        .address_space:  global
        .offset:         88
        .size:           8
        .value_kind:     global_buffer
      - .actual_access:  read_only
        .address_space:  global
        .offset:         96
        .size:           8
        .value_kind:     global_buffer
      - .actual_access:  write_only
        .address_space:  global
        .offset:         104
        .size:           8
        .value_kind:     global_buffer
    .group_segment_fixed_size: 0
    .kernarg_segment_align: 8
    .kernarg_segment_size: 112
    .language:       OpenCL C
    .language_version:
      - 2
      - 0
    .max_flat_workgroup_size: 250
    .name:           fft_rtc_back_len50_factors_10_5_wgs_250_tpt_10_dp_op_CI_CI_sbcc_dirReg
    .private_segment_fixed_size: 0
    .sgpr_count:     59
    .sgpr_spill_count: 0
    .symbol:         fft_rtc_back_len50_factors_10_5_wgs_250_tpt_10_dp_op_CI_CI_sbcc_dirReg.kd
    .uniform_work_group_size: 1
    .uses_dynamic_stack: false
    .vgpr_count:     94
    .vgpr_spill_count: 0
    .wavefront_size: 32
    .workgroup_processor_mode: 1
amdhsa.target:   amdgcn-amd-amdhsa--gfx1030
amdhsa.version:
  - 1
  - 2
...

	.end_amdgpu_metadata
